;; amdgpu-corpus repo=ROCm/rocFFT kind=compiled arch=gfx950 opt=O3
	.text
	.amdgcn_target "amdgcn-amd-amdhsa--gfx950"
	.amdhsa_code_object_version 6
	.protected	fft_rtc_back_len96_factors_4_2_3_4_wgs_192_tpt_8_dim2_sp_ip_CI_sbcc_twdbase8_2step_dirReg_intrinsicReadWrite ; -- Begin function fft_rtc_back_len96_factors_4_2_3_4_wgs_192_tpt_8_dim2_sp_ip_CI_sbcc_twdbase8_2step_dirReg_intrinsicReadWrite
	.globl	fft_rtc_back_len96_factors_4_2_3_4_wgs_192_tpt_8_dim2_sp_ip_CI_sbcc_twdbase8_2step_dirReg_intrinsicReadWrite
	.p2align	8
	.type	fft_rtc_back_len96_factors_4_2_3_4_wgs_192_tpt_8_dim2_sp_ip_CI_sbcc_twdbase8_2step_dirReg_intrinsicReadWrite,@function
fft_rtc_back_len96_factors_4_2_3_4_wgs_192_tpt_8_dim2_sp_ip_CI_sbcc_twdbase8_2step_dirReg_intrinsicReadWrite: ; @fft_rtc_back_len96_factors_4_2_3_4_wgs_192_tpt_8_dim2_sp_ip_CI_sbcc_twdbase8_2step_dirReg_intrinsicReadWrite
; %bb.0:
	s_load_dwordx4 s[4:7], s[0:1], 0x10
	s_mov_b32 s3, 0
	s_waitcnt lgkmcnt(0)
	s_load_dwordx2 s[10:11], s[4:5], 0x8
	s_load_dwordx2 s[8:9], s[0:1], 0x50
	s_nop 0
	s_load_dwordx2 s[4:5], s[6:7], 0x0
	s_waitcnt lgkmcnt(0)
	s_add_u32 s5, s10, -1
	s_addc_u32 s12, s11, -1
	s_add_u32 s13, 0, 0xaaaa0000
	s_addc_u32 s14, 0, 42
	s_mul_hi_u32 s16, s13, 0xffffffe8
	s_add_i32 s14, s14, 0xaaaaa80
	s_sub_i32 s16, s16, s13
	s_mul_i32 s19, s14, 0xffffffe8
	s_mul_i32 s15, s13, 0xffffffe8
	s_add_i32 s16, s16, s19
	s_mul_hi_u32 s17, s14, s15
	s_mul_i32 s18, s14, s15
	s_mul_i32 s20, s13, s16
	s_mul_hi_u32 s15, s13, s15
	s_mul_hi_u32 s19, s13, s16
	s_add_u32 s15, s15, s20
	s_addc_u32 s19, 0, s19
	s_add_u32 s15, s15, s18
	s_mul_hi_u32 s20, s14, s16
	s_addc_u32 s15, s19, s17
	s_addc_u32 s17, s20, 0
	s_mul_i32 s16, s14, s16
	s_add_u32 s15, s15, s16
	v_mov_b32_e32 v1, s15
	s_addc_u32 s16, 0, s17
	v_add_co_u32_e32 v1, vcc, s13, v1
	s_cmp_lg_u64 vcc, 0
	s_addc_u32 s13, s14, s16
	v_readfirstlane_b32 s16, v1
	s_mul_i32 s15, s5, s13
	s_mul_hi_u32 s17, s5, s16
	s_mul_hi_u32 s14, s5, s13
	s_add_u32 s15, s17, s15
	s_addc_u32 s14, 0, s14
	s_mul_hi_u32 s18, s12, s16
	s_mul_i32 s16, s12, s16
	s_add_u32 s15, s15, s16
	s_mul_hi_u32 s17, s12, s13
	s_addc_u32 s14, s14, s18
	s_addc_u32 s15, s17, 0
	s_mul_i32 s13, s12, s13
	s_add_u32 s13, s14, s13
	s_addc_u32 s14, 0, s15
	s_add_u32 s15, s13, 1
	s_addc_u32 s16, s14, 0
	s_add_u32 s17, s13, 2
	s_mul_i32 s19, s14, 24
	s_mul_hi_u32 s20, s13, 24
	s_addc_u32 s18, s14, 0
	s_add_i32 s20, s20, s19
	s_mul_i32 s19, s13, 24
	v_mov_b32_e32 v1, s19
	v_sub_co_u32_e32 v1, vcc, s5, v1
	s_cmp_lg_u64 vcc, 0
	s_subb_u32 s5, s12, s20
	v_subrev_co_u32_e32 v2, vcc, 24, v1
	s_cmp_lg_u64 vcc, 0
	s_subb_u32 s12, s5, 0
	v_readfirstlane_b32 s19, v2
	s_cmp_gt_u32 s19, 23
	s_cselect_b32 s19, -1, 0
	s_cmp_eq_u32 s12, 0
	s_cselect_b32 s12, s19, -1
	s_cmp_lg_u32 s12, 0
	s_cselect_b32 s12, s17, s15
	s_cselect_b32 s15, s18, s16
	v_readfirstlane_b32 s16, v1
	s_cmp_gt_u32 s16, 23
	s_cselect_b32 s16, -1, 0
	s_cmp_eq_u32 s5, 0
	s_cselect_b32 s5, s16, -1
	s_cmp_lg_u32 s5, 0
	s_cselect_b32 s12, s12, s13
	s_cselect_b32 s5, s15, s14
	s_add_u32 s12, s12, 1
	s_addc_u32 s13, s5, 0
	v_mov_b64_e32 v[2:3], s[12:13]
	v_cmp_lt_u64_e32 vcc, s[2:3], v[2:3]
	s_mov_b64 s[14:15], 0
	s_cbranch_vccnz .LBB0_2
; %bb.1:
	v_cvt_f32_u32_e32 v1, s12
	s_sub_i32 s3, 0, s12
	v_rcp_iflag_f32_e32 v1, v1
	s_nop 0
	v_mul_f32_e32 v1, 0x4f7ffffe, v1
	v_cvt_u32_f32_e32 v1, v1
	s_nop 0
	v_readfirstlane_b32 s5, v1
	s_mul_i32 s3, s3, s5
	s_mul_hi_u32 s3, s5, s3
	s_add_i32 s5, s5, s3
	s_mul_hi_u32 s3, s2, s5
	s_mul_i32 s14, s3, s12
	s_sub_i32 s14, s2, s14
	s_add_i32 s5, s3, 1
	s_sub_i32 s15, s14, s12
	s_cmp_ge_u32 s14, s12
	s_cselect_b32 s3, s5, s3
	s_cselect_b32 s14, s15, s14
	s_add_i32 s5, s3, 1
	s_cmp_ge_u32 s14, s12
	s_cselect_b32 s14, s5, s3
.LBB0_2:
	s_mul_i32 s3, s14, s13
	s_mul_hi_u32 s5, s14, s12
	s_load_dwordx4 s[16:19], s[6:7], 0x8
	s_add_i32 s5, s5, s3
	s_mul_i32 s3, s14, s12
	s_sub_u32 s2, s2, s3
	v_mul_u32_u24_e32 v1, 0xaab, v0
	s_subb_u32 s3, 0, s5
	v_lshrrev_b32_e32 v32, 16, v1
	s_mul_i32 s6, s3, 24
	s_mul_hi_u32 s3, s2, 24
	s_mul_i32 s12, s2, 24
	v_mul_lo_u16_e32 v1, 24, v32
	s_add_i32 s7, s3, s6
	s_waitcnt lgkmcnt(0)
	s_mul_i32 s3, s12, s16
	s_mul_i32 s5, s18, s14
	v_sub_u16_e32 v2, v0, v1
	v_mov_b32_e32 v3, 0
	s_add_u32 s5, s5, s3
	v_mad_u64_u32 v[8:9], s[2:3], s2, 24, v[2:3]
	s_add_u32 s2, s12, 24
	s_addc_u32 s3, s7, 0
	v_mov_b64_e32 v[4:5], s[10:11]
	v_add_u32_e32 v9, s6, v9
	v_cmp_le_u64_e32 vcc, s[2:3], v[4:5]
	v_mad_u64_u32 v[6:7], s[2:3], s16, v2, 0
	v_cmp_gt_u64_e64 s[2:3], s[10:11], v[8:9]
	s_or_b64 s[6:7], vcc, s[2:3]
	v_mov_b32_e32 v4, 0
	v_mov_b32_e32 v5, 0
	s_and_saveexec_b64 s[2:3], s[6:7]
	s_cbranch_execz .LBB0_4
; %bb.3:
	v_mul_lo_u32 v1, s4, v32
	v_add3_u32 v4, s5, v6, v1
	v_mov_b32_e32 v5, v3
	v_lshl_add_u64 v[4:5], v[4:5], 3, s[8:9]
	global_load_dwordx2 v[4:5], v[4:5], off
.LBB0_4:
	s_or_b64 exec, exec, s[2:3]
	v_add_u32_e32 v33, 24, v32
	v_mov_b32_e32 v11, 0
	s_and_saveexec_b64 s[2:3], s[6:7]
	s_cbranch_execz .LBB0_6
; %bb.5:
	v_mul_lo_u32 v1, s4, v33
	v_add3_u32 v10, s5, v6, v1
	v_mov_b32_e32 v11, 0
	v_lshl_add_u64 v[10:11], v[10:11], 3, s[8:9]
	global_load_dwordx2 v[10:11], v[10:11], off
	s_waitcnt vmcnt(0)
	v_mov_b32_e32 v3, v10
.LBB0_6:
	s_or_b64 exec, exec, s[2:3]
	v_mov_b32_e32 v12, 0
	v_mov_b32_e32 v14, 0
	;; [unrolled: 1-line block ×3, first 2 shown]
	s_and_saveexec_b64 s[2:3], s[6:7]
	s_cbranch_execz .LBB0_8
; %bb.7:
	v_or_b32_e32 v1, 48, v32
	v_mul_lo_u32 v1, s4, v1
	v_add3_u32 v14, s5, v6, v1
	v_mov_b32_e32 v15, 0
	v_lshl_add_u64 v[14:15], v[14:15], 3, s[8:9]
	global_load_dwordx2 v[14:15], v[14:15], off
.LBB0_8:
	s_or_b64 exec, exec, s[2:3]
	v_mov_b32_e32 v13, 0
	s_and_saveexec_b64 s[2:3], s[6:7]
	s_cbranch_execz .LBB0_10
; %bb.9:
	v_add_u32_e32 v1, 0x48, v32
	v_mul_lo_u32 v1, s4, v1
	v_add3_u32 v12, s5, v6, v1
	v_mov_b32_e32 v13, 0
	v_lshl_add_u64 v[12:13], v[12:13], 3, s[8:9]
	global_load_dwordx2 v[12:13], v[12:13], off
.LBB0_10:
	s_or_b64 exec, exec, s[2:3]
	v_add_u32_e32 v1, 8, v32
	v_mov_b32_e32 v16, 0
	v_mov_b32_e32 v18, 0
	;; [unrolled: 1-line block ×3, first 2 shown]
	s_and_saveexec_b64 s[2:3], s[6:7]
	s_cbranch_execz .LBB0_12
; %bb.11:
	v_mul_lo_u32 v7, s4, v1
	v_add3_u32 v18, s5, v6, v7
	v_mov_b32_e32 v19, 0
	v_lshl_add_u64 v[18:19], v[18:19], 3, s[8:9]
	global_load_dwordx2 v[18:19], v[18:19], off
.LBB0_12:
	s_or_b64 exec, exec, s[2:3]
	v_or_b32_e32 v34, 32, v32
	v_mov_b32_e32 v17, 0
	s_and_saveexec_b64 s[2:3], s[6:7]
	s_cbranch_execz .LBB0_14
; %bb.13:
	v_mul_lo_u32 v7, s4, v34
	v_add3_u32 v16, s5, v6, v7
	v_mov_b32_e32 v17, 0
	v_lshl_add_u64 v[16:17], v[16:17], 3, s[8:9]
	global_load_dwordx2 v[16:17], v[16:17], off
.LBB0_14:
	s_or_b64 exec, exec, s[2:3]
	v_mov_b32_e32 v20, 0
	v_mov_b32_e32 v22, 0
	;; [unrolled: 1-line block ×3, first 2 shown]
	s_and_saveexec_b64 s[2:3], s[6:7]
	s_cbranch_execz .LBB0_16
; %bb.15:
	v_add_u32_e32 v7, 56, v32
	v_mul_lo_u32 v7, s4, v7
	v_add3_u32 v22, s5, v6, v7
	v_mov_b32_e32 v23, 0
	v_lshl_add_u64 v[22:23], v[22:23], 3, s[8:9]
	global_load_dwordx2 v[22:23], v[22:23], off
.LBB0_16:
	s_or_b64 exec, exec, s[2:3]
	v_mov_b32_e32 v21, 0
	s_and_saveexec_b64 s[2:3], s[6:7]
	s_cbranch_execz .LBB0_18
; %bb.17:
	v_or_b32_e32 v7, 0x50, v32
	v_mul_lo_u32 v7, s4, v7
	v_add3_u32 v20, s5, v6, v7
	v_mov_b32_e32 v21, 0
	v_lshl_add_u64 v[20:21], v[20:21], 3, s[8:9]
	global_load_dwordx2 v[20:21], v[20:21], off
.LBB0_18:
	s_or_b64 exec, exec, s[2:3]
	v_or_b32_e32 v7, 16, v32
	v_mov_b32_e32 v24, 0
	v_mov_b32_e32 v26, 0
	;; [unrolled: 1-line block ×3, first 2 shown]
	s_and_saveexec_b64 s[2:3], s[6:7]
	s_cbranch_execz .LBB0_20
; %bb.19:
	v_mul_lo_u32 v9, s4, v7
	v_add3_u32 v26, s5, v6, v9
	v_mov_b32_e32 v27, 0
	v_lshl_add_u64 v[26:27], v[26:27], 3, s[8:9]
	global_load_dwordx2 v[26:27], v[26:27], off
.LBB0_20:
	s_or_b64 exec, exec, s[2:3]
	v_add_u32_e32 v35, 40, v32
	v_mov_b32_e32 v25, 0
	s_and_saveexec_b64 s[2:3], s[6:7]
	s_cbranch_execz .LBB0_22
; %bb.21:
	v_mul_lo_u32 v9, s4, v35
	v_add3_u32 v24, s5, v6, v9
	v_mov_b32_e32 v25, 0
	v_lshl_add_u64 v[24:25], v[24:25], 3, s[8:9]
	global_load_dwordx2 v[24:25], v[24:25], off
.LBB0_22:
	s_or_b64 exec, exec, s[2:3]
	s_load_dwordx2 s[2:3], s[0:1], 0x0
	v_mov_b32_e32 v28, 0
	v_mov_b32_e32 v30, 0
	;; [unrolled: 1-line block ×3, first 2 shown]
	s_and_saveexec_b64 s[10:11], s[6:7]
	s_cbranch_execz .LBB0_24
; %bb.23:
	v_or_b32_e32 v9, 64, v32
	v_mul_lo_u32 v9, s4, v9
	v_add3_u32 v30, s5, v6, v9
	v_mov_b32_e32 v31, 0
	v_lshl_add_u64 v[30:31], v[30:31], 3, s[8:9]
	global_load_dwordx2 v[30:31], v[30:31], off
.LBB0_24:
	s_or_b64 exec, exec, s[10:11]
	v_mov_b32_e32 v29, 0
	s_and_saveexec_b64 s[10:11], s[6:7]
	s_cbranch_execz .LBB0_26
; %bb.25:
	v_add_u32_e32 v9, 0x58, v32
	v_mul_lo_u32 v9, s4, v9
	v_add3_u32 v28, s5, v6, v9
	v_mov_b32_e32 v29, 0
	v_lshl_add_u64 v[28:29], v[28:29], 3, s[8:9]
	global_load_dwordx2 v[28:29], v[28:29], off
.LBB0_26:
	s_or_b64 exec, exec, s[10:11]
	v_mov_b32_e32 v10, v3
	v_mul_u32_u24_e32 v3, 0x60, v32
	s_waitcnt vmcnt(0)
	v_pk_add_f32 v[14:15], v[4:5], v[14:15] neg_lo:[0,1] neg_hi:[0,1]
	v_pk_add_f32 v[12:13], v[10:11], v[12:13] neg_lo:[0,1] neg_hi:[0,1]
	v_lshlrev_b32_e32 v3, 3, v3
	v_lshlrev_b32_e32 v41, 3, v2
	v_add3_u32 v36, 0, v3, v41
	v_pk_fma_f32 v[2:3], v[4:5], 2.0, v[14:15] op_sel_hi:[1,0,1] neg_lo:[0,0,1] neg_hi:[0,0,1]
	v_pk_fma_f32 v[4:5], v[10:11], 2.0, v[12:13] op_sel_hi:[1,0,1] neg_lo:[0,0,1] neg_hi:[0,0,1]
	v_pk_add_f32 v[10:11], v[14:15], v[12:13] op_sel:[0,1] op_sel_hi:[1,0]
	v_pk_add_f32 v[12:13], v[14:15], v[12:13] op_sel:[0,1] op_sel_hi:[1,0] neg_lo:[0,1] neg_hi:[0,1]
	v_pk_add_f32 v[4:5], v[2:3], v[4:5] neg_lo:[0,1] neg_hi:[0,1]
	v_mov_b32_e32 v11, v13
	v_pk_add_f32 v[22:23], v[18:19], v[22:23] neg_lo:[0,1] neg_hi:[0,1]
	v_pk_add_f32 v[20:21], v[16:17], v[20:21] neg_lo:[0,1] neg_hi:[0,1]
	v_pk_fma_f32 v[2:3], v[2:3], 2.0, v[4:5] op_sel_hi:[1,0,1] neg_lo:[0,0,1] neg_hi:[0,0,1]
	v_pk_fma_f32 v[12:13], v[14:15], 2.0, v[10:11] op_sel_hi:[1,0,1] neg_lo:[0,0,1] neg_hi:[0,0,1]
	ds_write2_b64 v36, v[2:3], v[12:13] offset1:24
	ds_write2_b64 v36, v[4:5], v[10:11] offset0:48 offset1:72
	v_pk_fma_f32 v[2:3], v[18:19], 2.0, v[22:23] op_sel_hi:[1,0,1] neg_lo:[0,0,1] neg_hi:[0,0,1]
	v_pk_fma_f32 v[4:5], v[16:17], 2.0, v[20:21] op_sel_hi:[1,0,1] neg_lo:[0,0,1] neg_hi:[0,0,1]
	v_pk_add_f32 v[10:11], v[22:23], v[20:21] op_sel:[0,1] op_sel_hi:[1,0]
	v_pk_add_f32 v[12:13], v[22:23], v[20:21] op_sel:[0,1] op_sel_hi:[1,0] neg_lo:[0,1] neg_hi:[0,1]
	v_pk_add_f32 v[4:5], v[2:3], v[4:5] neg_lo:[0,1] neg_hi:[0,1]
	v_mov_b32_e32 v11, v13
	v_pk_add_f32 v[30:31], v[26:27], v[30:31] neg_lo:[0,1] neg_hi:[0,1]
	v_pk_add_f32 v[28:29], v[24:25], v[28:29] neg_lo:[0,1] neg_hi:[0,1]
	v_pk_fma_f32 v[2:3], v[2:3], 2.0, v[4:5] op_sel_hi:[1,0,1] neg_lo:[0,0,1] neg_hi:[0,0,1]
	v_pk_fma_f32 v[12:13], v[22:23], 2.0, v[10:11] op_sel_hi:[1,0,1] neg_lo:[0,0,1] neg_hi:[0,0,1]
	v_add_u32_e32 v9, 0x1800, v36
	ds_write2_b64 v9, v[2:3], v[12:13] offset1:24
	ds_write2_b64 v9, v[4:5], v[10:11] offset0:48 offset1:72
	v_pk_fma_f32 v[2:3], v[26:27], 2.0, v[30:31] op_sel_hi:[1,0,1] neg_lo:[0,0,1] neg_hi:[0,0,1]
	v_pk_fma_f32 v[4:5], v[24:25], 2.0, v[28:29] op_sel_hi:[1,0,1] neg_lo:[0,0,1] neg_hi:[0,0,1]
	v_pk_add_f32 v[10:11], v[30:31], v[28:29] op_sel:[0,1] op_sel_hi:[1,0]
	v_pk_add_f32 v[12:13], v[30:31], v[28:29] op_sel:[0,1] op_sel_hi:[1,0] neg_lo:[0,1] neg_hi:[0,1]
	v_pk_add_f32 v[4:5], v[2:3], v[4:5] neg_lo:[0,1] neg_hi:[0,1]
	v_mov_b32_e32 v11, v13
	v_pk_fma_f32 v[2:3], v[2:3], 2.0, v[4:5] op_sel_hi:[1,0,1] neg_lo:[0,0,1] neg_hi:[0,0,1]
	v_pk_fma_f32 v[12:13], v[30:31], 2.0, v[10:11] op_sel_hi:[1,0,1] neg_lo:[0,0,1] neg_hi:[0,0,1]
	v_add_u32_e32 v9, 0x3000, v36
	ds_write2_b64 v9, v[2:3], v[12:13] offset1:24
	ds_write2_b64 v9, v[4:5], v[10:11] offset0:48 offset1:72
	v_and_b32_e32 v3, 3, v32
	v_lshlrev_b32_e32 v2, 3, v3
	s_waitcnt lgkmcnt(0)
	s_barrier
	global_load_dwordx2 v[4:5], v2, s[2:3]
	v_lshlrev_b32_e32 v38, 1, v32
	v_and_or_b32 v38, v38, 24, v3
	v_mul_u32_u24_e32 v38, 0xc0, v38
	v_add3_u32 v42, 0, v38, v41
	v_lshlrev_b32_e32 v38, 1, v1
	s_movk_i32 s11, 0x3000
	s_movk_i32 s12, 0xfdc0
	v_mul_i32_i24_e32 v18, 0xfffffdc0, v7
	v_and_or_b32 v38, v38, 56, v3
	s_movk_i32 s10, 0x1800
	v_mad_i32_i24 v2, v32, s12, v36
	v_mul_i32_i24_e32 v9, 0xfffffdc0, v1
	v_add3_u32 v40, v36, s11, v18
	v_mul_u32_u24_e32 v38, 0xc0, v38
	ds_read2st64_b64 v[10:13], v2 offset1:18
	v_add3_u32 v9, v36, s10, v9
	ds_read2st64_b64 v[14:17], v2 offset0:21 offset1:24
	ds_read2st64_b64 v[18:21], v40 offset1:3
	ds_read2st64_b64 v[22:25], v2 offset0:27 offset1:30
	ds_read2st64_b64 v[26:29], v40 offset0:6 offset1:9
	ds_read_b64 v[30:31], v9
	ds_read_b64 v[36:37], v2 offset:16896
	v_add3_u32 v43, 0, v38, v41
	v_lshlrev_b32_e32 v38, 1, v7
	v_and_or_b32 v38, v38, 56, v3
	s_movk_i32 s10, 0x78
	v_lshlrev_b32_e32 v34, 1, v34
	v_mul_u32_u24_e32 v38, 0xc0, v38
	v_and_or_b32 v34, v34, s10, v3
	v_add3_u32 v44, 0, v38, v41
	v_lshlrev_b32_e32 v38, 1, v33
	v_mul_u32_u24_e32 v34, 0xc0, v34
	v_and_or_b32 v38, v38, s10, v3
	v_add3_u32 v46, 0, v34, v41
	;; [unrolled: 4-line block ×3, first 2 shown]
	v_mul_u32_u24_e32 v3, 0xc0, v3
	v_add3_u32 v3, 0, v3, v41
	s_waitcnt lgkmcnt(0)
	s_barrier
	s_mov_b32 s10, 0x3f5db3d7
	s_waitcnt vmcnt(0)
	v_pk_mul_f32 v[34:35], v[4:5], v[36:37] op_sel:[0,1]
	s_nop 0
	v_pk_fma_f32 v[38:39], v[4:5], v[36:37], v[34:35] op_sel:[0,0,1] op_sel_hi:[1,1,0]
	v_pk_fma_f32 v[34:35], v[4:5], v[36:37], v[34:35] op_sel:[0,0,1] op_sel_hi:[1,0,0] neg_lo:[1,0,0] neg_hi:[1,0,0]
	v_pk_mul_f32 v[36:37], v[4:5], v[24:25] op_sel:[0,1]
	v_mov_b32_e32 v39, v35
	v_pk_add_f32 v[34:35], v[28:29], v[38:39] neg_lo:[0,1] neg_hi:[0,1]
	v_pk_fma_f32 v[38:39], v[4:5], v[24:25], v[36:37] op_sel:[0,0,1] op_sel_hi:[1,1,0]
	v_pk_fma_f32 v[24:25], v[4:5], v[24:25], v[36:37] op_sel:[0,0,1] op_sel_hi:[1,0,0] neg_lo:[1,0,0] neg_hi:[1,0,0]
	v_pk_mul_f32 v[36:37], v[4:5], v[22:23] op_sel:[0,1]
	v_mov_b32_e32 v39, v25
	v_pk_add_f32 v[24:25], v[26:27], v[38:39] neg_lo:[0,1] neg_hi:[0,1]
	v_pk_fma_f32 v[38:39], v[4:5], v[22:23], v[36:37] op_sel:[0,0,1] op_sel_hi:[1,1,0]
	v_pk_fma_f32 v[22:23], v[4:5], v[22:23], v[36:37] op_sel:[0,0,1] op_sel_hi:[1,0,0] neg_lo:[1,0,0] neg_hi:[1,0,0]
	v_pk_mul_f32 v[36:37], v[4:5], v[16:17] op_sel:[0,1]
	v_mov_b32_e32 v39, v23
	v_pk_add_f32 v[22:23], v[20:21], v[38:39] neg_lo:[0,1] neg_hi:[0,1]
	v_pk_fma_f32 v[38:39], v[4:5], v[16:17], v[36:37] op_sel:[0,0,1] op_sel_hi:[1,1,0]
	v_pk_fma_f32 v[16:17], v[4:5], v[16:17], v[36:37] op_sel:[0,0,1] op_sel_hi:[1,0,0] neg_lo:[1,0,0] neg_hi:[1,0,0]
	v_pk_mul_f32 v[36:37], v[4:5], v[14:15] op_sel:[0,1]
	v_mov_b32_e32 v39, v17
	v_pk_add_f32 v[16:17], v[18:19], v[38:39] neg_lo:[0,1] neg_hi:[0,1]
	v_pk_fma_f32 v[38:39], v[4:5], v[14:15], v[36:37] op_sel:[0,0,1] op_sel_hi:[1,1,0]
	v_pk_fma_f32 v[14:15], v[4:5], v[14:15], v[36:37] op_sel:[0,0,1] op_sel_hi:[1,0,0] neg_lo:[1,0,0] neg_hi:[1,0,0]
	v_pk_mul_f32 v[36:37], v[4:5], v[12:13] op_sel:[0,1]
	v_mov_b32_e32 v39, v15
	v_pk_add_f32 v[14:15], v[30:31], v[38:39] neg_lo:[0,1] neg_hi:[0,1]
	v_pk_fma_f32 v[38:39], v[4:5], v[12:13], v[36:37] op_sel:[0,0,1] op_sel_hi:[1,1,0]
	v_pk_fma_f32 v[4:5], v[4:5], v[12:13], v[36:37] op_sel:[0,0,1] op_sel_hi:[1,0,0] neg_lo:[1,0,0] neg_hi:[1,0,0]
	v_pk_fma_f32 v[28:29], v[28:29], 2.0, v[34:35] op_sel_hi:[1,0,1] neg_lo:[0,0,1] neg_hi:[0,0,1]
	v_mov_b32_e32 v39, v5
	v_pk_add_f32 v[4:5], v[10:11], v[38:39] neg_lo:[0,1] neg_hi:[0,1]
	v_pk_fma_f32 v[26:27], v[26:27], 2.0, v[24:25] op_sel_hi:[1,0,1] neg_lo:[0,0,1] neg_hi:[0,0,1]
	v_pk_fma_f32 v[10:11], v[10:11], 2.0, v[4:5] op_sel_hi:[1,0,1] neg_lo:[0,0,1] neg_hi:[0,0,1]
	;; [unrolled: 1-line block ×5, first 2 shown]
	ds_write2_b64 v42, v[10:11], v[4:5] offset1:96
	ds_write2_b64 v43, v[30:31], v[14:15] offset1:96
	;; [unrolled: 1-line block ×6, first 2 shown]
	v_and_b32_e32 v3, 7, v32
	v_lshlrev_b32_e32 v4, 4, v3
	s_waitcnt lgkmcnt(0)
	s_barrier
	global_load_dwordx4 v[10:13], v4, s[2:3] offset:32
	v_lshrrev_b32_e32 v4, 3, v32
	v_lshrrev_b32_e32 v5, 3, v1
	;; [unrolled: 1-line block ×3, first 2 shown]
	v_mul_u32_u24_e32 v4, 24, v4
	v_mul_u32_u24_e32 v5, 24, v5
	;; [unrolled: 1-line block ×3, first 2 shown]
	v_lshrrev_b32_e32 v15, 3, v33
	v_or_b32_e32 v4, v4, v3
	v_or_b32_e32 v5, v5, v3
	;; [unrolled: 1-line block ×3, first 2 shown]
	v_mul_u32_u24_e32 v15, 24, v15
	v_mul_u32_u24_e32 v4, 0xc0, v4
	;; [unrolled: 1-line block ×4, first 2 shown]
	v_or_b32_e32 v3, v15, v3
	v_add3_u32 v33, 0, v4, v41
	v_add3_u32 v50, 0, v5, v41
	;; [unrolled: 1-line block ×3, first 2 shown]
	ds_read_b64 v[4:5], v40 offset:3072
	ds_read2st64_b64 v[14:17], v2 offset0:18 offset1:21
	ds_read2st64_b64 v[18:21], v2 offset0:30 offset1:33
	;; [unrolled: 1-line block ×3, first 2 shown]
	ds_read2st64_b64 v[26:29], v2 offset1:15
	ds_read2st64_b64 v[34:37], v40 offset1:3
	v_mul_u32_u24_e32 v3, 0xc0, v3
	v_add3_u32 v3, 0, v3, v41
	s_waitcnt vmcnt(0) lgkmcnt(4)
	v_pk_mul_f32 v[30:31], v[10:11], v[16:17] op_sel:[0,1]
	s_waitcnt lgkmcnt(3)
	v_pk_mul_f32 v[38:39], v[12:13], v[18:19] op_sel:[0,1]
	v_pk_fma_f32 v[42:43], v[10:11], v[16:17], v[30:31] op_sel:[0,0,1] op_sel_hi:[1,1,0]
	v_pk_fma_f32 v[16:17], v[10:11], v[16:17], v[30:31] op_sel:[0,0,1] op_sel_hi:[1,0,0] neg_lo:[1,0,0] neg_hi:[1,0,0]
	v_pk_fma_f32 v[30:31], v[12:13], v[18:19], v[38:39] op_sel:[0,0,1] op_sel_hi:[1,1,0]
	v_pk_fma_f32 v[18:19], v[12:13], v[18:19], v[38:39] op_sel:[0,0,1] op_sel_hi:[1,0,0] neg_lo:[1,0,0] neg_hi:[1,0,0]
	s_waitcnt lgkmcnt(1)
	v_pk_mul_f32 v[44:45], v[10:11], v[28:29] op_sel:[0,1]
	v_mov_b32_e32 v31, v19
	v_pk_mul_f32 v[18:19], v[10:11], v[14:15] op_sel:[0,1]
	v_pk_fma_f32 v[46:47], v[10:11], v[28:29], v[44:45] op_sel:[0,0,1] op_sel_hi:[1,1,0]
	v_pk_fma_f32 v[38:39], v[10:11], v[14:15], v[18:19] op_sel:[0,0,1] op_sel_hi:[1,1,0]
	v_pk_fma_f32 v[14:15], v[10:11], v[14:15], v[18:19] op_sel:[0,0,1] op_sel_hi:[1,0,0] neg_lo:[1,0,0] neg_hi:[1,0,0]
	v_pk_fma_f32 v[28:29], v[10:11], v[28:29], v[44:45] op_sel:[0,0,1] op_sel_hi:[1,0,0] neg_lo:[1,0,0] neg_hi:[1,0,0]
	v_mov_b32_e32 v14, v13
	v_mov_b32_e32 v39, v15
	v_pk_mul_f32 v[14:15], v[20:21], v[14:15] op_sel_hi:[1,0]
	v_pk_mul_f32 v[44:45], v[12:13], v[24:25] op_sel:[0,1]
	v_pk_fma_f32 v[18:19], v[20:21], v[12:13], v[14:15] op_sel:[0,0,1] op_sel_hi:[1,1,0]
	v_pk_fma_f32 v[14:15], v[20:21], v[12:13], v[14:15] op_sel:[0,0,1] op_sel_hi:[1,0,0] neg_lo:[0,0,1] neg_hi:[0,0,1]
	ds_read_b64 v[20:21], v9
	v_mov_b32_e32 v47, v29
	v_pk_fma_f32 v[48:49], v[12:13], v[24:25], v[44:45] op_sel:[0,0,1] op_sel_hi:[1,1,0]
	v_pk_fma_f32 v[24:25], v[12:13], v[24:25], v[44:45] op_sel:[0,0,1] op_sel_hi:[1,0,0] neg_lo:[1,0,0] neg_hi:[1,0,0]
	s_waitcnt lgkmcnt(0)
	v_pk_add_f32 v[28:29], v[20:21], v[46:47]
	v_mov_b32_e32 v49, v25
	v_pk_add_f32 v[24:25], v[28:29], v[48:49]
	v_pk_add_f32 v[28:29], v[46:47], v[48:49]
	s_barrier
	v_pk_fma_f32 v[20:21], v[28:29], 0.5, v[20:21] op_sel_hi:[1,0,1] neg_lo:[1,0,0] neg_hi:[1,0,0]
	v_pk_add_f32 v[28:29], v[46:47], v[48:49] neg_lo:[0,1] neg_hi:[0,1]
	s_nop 0
	v_pk_mul_f32 v[28:29], v[28:29], s[10:11] op_sel_hi:[1,0]
	v_mov_b32_e32 v19, v15
	v_pk_add_f32 v[44:45], v[20:21], v[28:29] op_sel:[0,1] op_sel_hi:[1,0] neg_lo:[0,1] neg_hi:[0,1]
	v_pk_add_f32 v[20:21], v[20:21], v[28:29] op_sel:[0,1] op_sel_hi:[1,0]
	v_pk_mul_f32 v[28:29], v[10:11], v[4:5] op_sel:[0,1]
	v_pk_add_f32 v[14:15], v[34:35], v[38:39]
	v_pk_fma_f32 v[46:47], v[10:11], v[4:5], v[28:29] op_sel:[0,0,1] op_sel_hi:[1,1,0]
	v_pk_fma_f32 v[4:5], v[10:11], v[4:5], v[28:29] op_sel:[0,0,1] op_sel_hi:[1,0,0] neg_lo:[1,0,0] neg_hi:[1,0,0]
	v_pk_mul_f32 v[10:11], v[12:13], v[22:23] op_sel:[0,1]
	v_mov_b32_e32 v47, v5
	v_pk_fma_f32 v[28:29], v[12:13], v[22:23], v[10:11] op_sel:[0,0,1] op_sel_hi:[1,1,0]
	v_pk_fma_f32 v[10:11], v[12:13], v[22:23], v[10:11] op_sel:[0,0,1] op_sel_hi:[1,0,0] neg_lo:[1,0,0] neg_hi:[1,0,0]
	v_pk_add_f32 v[4:5], v[26:27], v[46:47]
	v_mov_b32_e32 v29, v11
	v_pk_add_f32 v[10:11], v[46:47], v[28:29]
	v_pk_add_f32 v[12:13], v[46:47], v[28:29] neg_lo:[0,1] neg_hi:[0,1]
	v_pk_fma_f32 v[10:11], v[10:11], 0.5, v[26:27] op_sel_hi:[1,0,1] neg_lo:[1,0,0] neg_hi:[1,0,0]
	v_pk_mul_f32 v[12:13], v[12:13], s[10:11] op_sel_hi:[1,0]
	v_pk_add_f32 v[4:5], v[4:5], v[28:29]
	v_pk_add_f32 v[22:23], v[10:11], v[12:13] op_sel:[0,1] op_sel_hi:[1,0] neg_lo:[0,1] neg_hi:[0,1]
	v_pk_add_f32 v[10:11], v[10:11], v[12:13] op_sel:[0,1] op_sel_hi:[1,0]
	v_mov_b32_e32 v12, v22
	v_mov_b32_e32 v13, v11
	ds_write2st64_b64 v33, v[4:5], v[12:13] offset1:3
	v_mov_b32_e32 v11, v23
	v_mov_b32_e32 v4, v44
	;; [unrolled: 1-line block ×3, first 2 shown]
	ds_write_b64 v33, v[10:11] offset:3072
	ds_write2st64_b64 v50, v[24:25], v[4:5] offset1:3
	v_pk_add_f32 v[4:5], v[38:39], v[30:31]
	v_pk_add_f32 v[10:11], v[38:39], v[30:31] neg_lo:[0,1] neg_hi:[0,1]
	v_pk_fma_f32 v[4:5], v[4:5], 0.5, v[34:35] op_sel_hi:[1,0,1] neg_lo:[1,0,0] neg_hi:[1,0,0]
	v_pk_mul_f32 v[10:11], v[10:11], s[10:11] op_sel_hi:[1,0]
	v_mov_b32_e32 v43, v17
	v_pk_add_f32 v[12:13], v[4:5], v[10:11] op_sel:[0,1] op_sel_hi:[1,0] neg_lo:[0,1] neg_hi:[0,1]
	v_pk_add_f32 v[4:5], v[4:5], v[10:11] op_sel:[0,1] op_sel_hi:[1,0]
	v_pk_add_f32 v[14:15], v[14:15], v[30:31]
	v_mov_b32_e32 v21, v45
	v_mov_b32_e32 v10, v12
	;; [unrolled: 1-line block ×4, first 2 shown]
	ds_write_b64 v50, v[20:21] offset:3072
	ds_write2st64_b64 v51, v[14:15], v[10:11] offset1:3
	ds_write_b64 v51, v[4:5] offset:3072
	v_pk_add_f32 v[4:5], v[42:43], v[18:19]
	v_pk_add_f32 v[10:11], v[42:43], v[18:19] neg_lo:[0,1] neg_hi:[0,1]
	v_pk_fma_f32 v[4:5], v[4:5], 0.5, v[36:37] op_sel_hi:[1,0,1] neg_lo:[1,0,0] neg_hi:[1,0,0]
	v_pk_mul_f32 v[10:11], v[10:11], s[10:11] op_sel_hi:[1,0]
	v_pk_add_f32 v[16:17], v[36:37], v[42:43]
	v_pk_add_f32 v[12:13], v[4:5], v[10:11] op_sel:[0,1] op_sel_hi:[1,0] neg_lo:[0,1] neg_hi:[0,1]
	v_pk_add_f32 v[4:5], v[4:5], v[10:11] op_sel:[0,1] op_sel_hi:[1,0]
	v_pk_add_f32 v[16:17], v[16:17], v[18:19]
	v_mov_b32_e32 v10, v12
	v_mov_b32_e32 v11, v5
	;; [unrolled: 1-line block ×3, first 2 shown]
	ds_write2st64_b64 v3, v[16:17], v[10:11] offset1:3
	ds_write_b64 v3, v[4:5] offset:3072
	s_waitcnt lgkmcnt(0)
	s_barrier
	s_and_saveexec_b64 s[10:11], s[6:7]
	s_cbranch_execz .LBB0_28
; %bb.27:
	v_mul_lo_u16_e32 v3, 11, v1
	v_lshrrev_b16_e32 v41, 8, v3
	v_mul_lo_u16_e32 v3, 24, v41
	v_sub_u16_e32 v3, v1, v3
	s_movk_i32 s6, 0x240
	v_and_b32_e32 v60, 0xff, v3
	v_subrev_u32_e32 v3, 24, v32
	v_cmp_gt_u32_e32 vcc, s6, v0
	v_mov_b32_e32 v11, 0
	s_load_dwordx2 s[0:1], s[0:1], 0x8
	v_cndmask_b32_e32 v64, v3, v32, vcc
	v_mul_i32_i24_e32 v10, 3, v64
	v_lshl_add_u64 v[4:5], v[10:11], 3, s[2:3]
	v_mul_lo_u16_e32 v10, 11, v7
	v_lshrrev_b16_e32 v65, 8, v10
	v_mul_lo_u16_e32 v10, 24, v65
	v_sub_u16_e32 v10, v7, v10
	v_mul_u32_u24_e32 v3, 3, v60
	v_and_b32_e32 v52, 0xff, v10
	global_load_dwordx2 v[12:13], v[4:5], off offset:176
	global_load_dwordx4 v[20:23], v[4:5], off offset:160
	v_lshlrev_b32_e32 v3, 3, v3
	v_mul_u32_u24_e32 v10, 3, v52
	global_load_dwordx2 v[4:5], v3, s[2:3] offset:176
	v_lshlrev_b32_e32 v10, 3, v10
	global_load_dwordx4 v[36:39], v10, s[2:3] offset:160
	global_load_dwordx2 v[34:35], v10, s[2:3] offset:176
	v_add_u32_e32 v10, 0x600, v40
	ds_read2st64_b64 v[24:27], v2 offset0:27 offset1:30
	ds_read2st64_b64 v[30:33], v2 offset0:15 offset1:18
	ds_read_b64 v[16:17], v10
	ds_read_b64 v[42:43], v2 offset:16896
	s_waitcnt vmcnt(4) lgkmcnt(0)
	v_pk_mul_f32 v[18:19], v[12:13], v[24:25] op_sel:[0,1]
	s_waitcnt vmcnt(3)
	v_pk_mul_f32 v[28:29], v[22:23], v[32:33] op_sel:[0,1]
	v_pk_mul_f32 v[44:45], v[20:21], v[16:17] op_sel:[0,1]
	v_pk_fma_f32 v[14:15], v[12:13], v[24:25], v[18:19] op_sel:[0,0,1] op_sel_hi:[1,1,0]
	v_pk_fma_f32 v[18:19], v[12:13], v[24:25], v[18:19] op_sel:[0,0,1] op_sel_hi:[1,0,0] neg_lo:[1,0,0] neg_hi:[1,0,0]
	v_pk_fma_f32 v[12:13], v[20:21], v[16:17], v[44:45] op_sel:[0,0,1] op_sel_hi:[1,1,0]
	v_pk_fma_f32 v[20:21], v[20:21], v[16:17], v[44:45] op_sel:[0,0,1] op_sel_hi:[1,0,0] neg_lo:[1,0,0] neg_hi:[1,0,0]
	;; [unrolled: 2-line block ×3, first 2 shown]
	s_waitcnt vmcnt(2)
	v_pk_mul_f32 v[28:29], v[26:27], v[4:5] op_sel:[0,1]
	s_waitcnt vmcnt(0)
	v_pk_mul_f32 v[44:45], v[42:43], v[34:35] op_sel:[0,1]
	v_pk_fma_f32 v[24:25], v[26:27], v[4:5], v[28:29] op_sel:[0,0,1] op_sel_hi:[1,1,0]
	v_pk_fma_f32 v[26:27], v[26:27], v[4:5], v[28:29] op_sel:[0,0,1] op_sel_hi:[1,0,0] neg_lo:[0,0,1] neg_hi:[0,0,1]
	v_pk_mul_f32 v[4:5], v[30:31], v[36:37] op_sel:[0,1]
	v_mov_b32_e32 v13, 3
	v_pk_fma_f32 v[28:29], v[30:31], v[36:37], v[4:5] op_sel:[0,0,1] op_sel_hi:[1,1,0]
	v_pk_fma_f32 v[32:33], v[30:31], v[36:37], v[4:5] op_sel:[0,0,1] op_sel_hi:[1,0,0] neg_lo:[0,0,1] neg_hi:[0,0,1]
	v_pk_fma_f32 v[30:31], v[42:43], v[34:35], v[44:45] op_sel:[0,0,1] op_sel_hi:[1,1,0]
	v_pk_fma_f32 v[34:35], v[42:43], v[34:35], v[44:45] op_sel:[0,0,1] op_sel_hi:[1,0,0] neg_lo:[0,0,1] neg_hi:[0,0,1]
	ds_read2st64_b64 v[42:45], v2 offset0:21 offset1:24
	v_mov_b32_e32 v4, v39
	v_mov_b32_e32 v29, v33
	;; [unrolled: 1-line block ×3, first 2 shown]
	v_pk_add_f32 v[30:31], v[28:29], v[30:31] neg_lo:[0,1] neg_hi:[0,1]
	s_waitcnt lgkmcnt(0)
	v_pk_mul_f32 v[4:5], v[44:45], v[4:5] op_sel_hi:[1,0]
	v_pk_fma_f32 v[28:29], v[28:29], 2.0, v[30:31] op_sel_hi:[1,0,1] neg_lo:[0,0,1] neg_hi:[0,0,1]
	v_pk_fma_f32 v[36:37], v[44:45], v[38:39], v[4:5] op_sel:[0,0,1] op_sel_hi:[1,1,0]
	v_pk_fma_f32 v[38:39], v[44:45], v[38:39], v[4:5] op_sel:[0,0,1] op_sel_hi:[1,0,0] neg_lo:[0,0,1] neg_hi:[0,0,1]
	v_add_u32_e32 v4, 0x48, v52
	v_mul_lo_u32 v4, v8, v4
	v_lshlrev_b32_sdwa v10, v13, v4 dst_sel:DWORD dst_unused:UNUSED_PAD src0_sel:DWORD src1_sel:BYTE_0
	v_lshlrev_b32_sdwa v15, v13, v4 dst_sel:DWORD dst_unused:UNUSED_PAD src0_sel:DWORD src1_sel:BYTE_1
	global_load_dwordx2 v[4:5], v10, s[0:1]
	global_load_dwordx2 v[44:45], v15, s[0:1] offset:2048
	v_mov_b32_e32 v37, v39
	s_waitcnt vmcnt(0)
	v_mul_f32_e32 v10, v5, v45
	v_fma_f32 v15, v4, v44, -v10
	v_mul_f32_e32 v17, v4, v45
	v_add_u32_e32 v4, 24, v52
	v_mul_lo_u32 v4, v8, v4
	v_lshlrev_b32_sdwa v10, v13, v4 dst_sel:DWORD dst_unused:UNUSED_PAD src0_sel:DWORD src1_sel:BYTE_0
	v_fmac_f32_e32 v17, v5, v44
	v_lshlrev_b32_sdwa v18, v13, v4 dst_sel:DWORD dst_unused:UNUSED_PAD src0_sel:DWORD src1_sel:BYTE_1
	global_load_dwordx2 v[4:5], v10, s[0:1]
	global_load_dwordx2 v[44:45], v18, s[0:1] offset:2048
	s_waitcnt vmcnt(0)
	v_mul_f32_e32 v10, v5, v45
	v_fma_f32 v18, v4, v44, -v10
	v_mul_f32_e32 v20, v4, v45
	v_add_u32_e32 v4, 48, v52
	v_mul_lo_u32 v4, v8, v4
	v_lshlrev_b32_sdwa v22, v13, v4 dst_sel:DWORD dst_unused:UNUSED_PAD src0_sel:DWORD src1_sel:BYTE_1
	v_fmac_f32_e32 v20, v5, v44
	v_lshlrev_b32_sdwa v10, v13, v4 dst_sel:DWORD dst_unused:UNUSED_PAD src0_sel:DWORD src1_sel:BYTE_0
	global_load_dwordx2 v[4:5], v22, s[0:1] offset:2048
	global_load_dwordx2 v[44:45], v10, s[0:1]
	s_waitcnt vmcnt(1)
	v_mov_b32_e32 v10, v5
	s_waitcnt vmcnt(0)
	v_pk_mul_f32 v[48:49], v[44:45], v[4:5] op_sel:[1,0] op_sel_hi:[0,1]
	v_pk_mul_f32 v[46:47], v[44:45], v[10:11] op_sel:[1,0] op_sel_hi:[0,1]
	v_mov_b32_e32 v10, v49
	v_pk_fma_f32 v[48:49], v[44:45], v[4:5], v[46:47] neg_lo:[0,0,1] neg_hi:[0,0,1]
	v_pk_fma_f32 v[50:51], v[44:45], v[4:5], v[10:11] op_sel:[1,0,0] op_sel_hi:[0,1,1]
	v_mul_lo_u32 v4, v8, v52
	v_lshlrev_b32_sdwa v10, v13, v4 dst_sel:DWORD dst_unused:UNUSED_PAD src0_sel:DWORD src1_sel:BYTE_0
	v_lshlrev_b32_sdwa v22, v13, v4 dst_sel:DWORD dst_unused:UNUSED_PAD src0_sel:DWORD src1_sel:BYTE_1
	global_load_dwordx2 v[4:5], v10, s[0:1]
	global_load_dwordx2 v[44:45], v22, s[0:1] offset:2048
	s_waitcnt vmcnt(0)
	v_mul_f32_e32 v10, v5, v45
	v_mul_f32_e32 v22, v4, v45
	v_fma_f32 v10, v4, v44, -v10
	v_fmac_f32_e32 v22, v5, v44
	global_load_dwordx4 v[44:47], v3, s[2:3] offset:160
	s_movk_i32 s2, 0x48
	s_waitcnt vmcnt(0)
	v_pk_mul_f32 v[4:5], v[46:47], v[42:43] op_sel:[0,1]
	s_nop 0
	v_pk_fma_f32 v[52:53], v[46:47], v[42:43], v[4:5] op_sel:[0,0,1] op_sel_hi:[1,1,0]
	v_pk_fma_f32 v[42:43], v[46:47], v[42:43], v[4:5] op_sel:[0,0,1] op_sel_hi:[1,0,0] neg_lo:[1,0,0] neg_hi:[1,0,0]
	ds_read2st64_b64 v[2:5], v2 offset1:12
	v_mov_b32_e32 v53, v43
	s_waitcnt lgkmcnt(0)
	v_pk_mul_f32 v[46:47], v[44:45], v[4:5] op_sel:[0,1]
	s_nop 0
	v_pk_fma_f32 v[54:55], v[44:45], v[4:5], v[46:47] op_sel:[0,0,1] op_sel_hi:[1,1,0]
	v_pk_fma_f32 v[4:5], v[44:45], v[4:5], v[46:47] op_sel:[0,0,1] op_sel_hi:[1,0,0] neg_lo:[1,0,0] neg_hi:[1,0,0]
	s_nop 0
	v_add_u32_e32 v4, 0x48, v60
	v_mul_lo_u32 v4, v8, v4
	v_lshlrev_b32_sdwa v25, v13, v4 dst_sel:DWORD dst_unused:UNUSED_PAD src0_sel:DWORD src1_sel:BYTE_0
	v_lshlrev_b32_sdwa v4, v13, v4 dst_sel:DWORD dst_unused:UNUSED_PAD src0_sel:DWORD src1_sel:BYTE_1
	global_load_dwordx2 v[44:45], v25, s[0:1]
	global_load_dwordx2 v[46:47], v4, s[0:1] offset:2048
	v_mov_b32_e32 v55, v5
	s_waitcnt vmcnt(0)
	v_mul_f32_e32 v4, v45, v47
	v_fma_f32 v42, v44, v46, -v4
	v_add_u32_e32 v4, 48, v60
	v_mul_lo_u32 v4, v8, v4
	v_mul_f32_e32 v66, v44, v47
	v_lshlrev_b32_sdwa v25, v13, v4 dst_sel:DWORD dst_unused:UNUSED_PAD src0_sel:DWORD src1_sel:BYTE_0
	v_lshlrev_b32_sdwa v4, v13, v4 dst_sel:DWORD dst_unused:UNUSED_PAD src0_sel:DWORD src1_sel:BYTE_1
	v_fmac_f32_e32 v66, v45, v46
	global_load_dwordx2 v[44:45], v4, s[0:1] offset:2048
	global_load_dwordx2 v[46:47], v25, s[0:1]
	s_waitcnt vmcnt(1)
	v_mov_b32_e32 v4, v45
	s_waitcnt vmcnt(0)
	v_pk_mul_f32 v[58:59], v[46:47], v[44:45] op_sel:[1,0] op_sel_hi:[0,1]
	v_pk_mul_f32 v[56:57], v[46:47], v[4:5] op_sel:[1,0] op_sel_hi:[0,1]
	v_mov_b32_e32 v4, v59
	v_pk_fma_f32 v[56:57], v[46:47], v[44:45], v[56:57] neg_lo:[0,0,1] neg_hi:[0,0,1]
	v_pk_fma_f32 v[44:45], v[46:47], v[44:45], v[4:5] op_sel:[1,0,0] op_sel_hi:[0,1,1]
	v_add_u32_e32 v4, 24, v60
	v_mul_lo_u32 v4, v8, v4
	v_lshlrev_b32_sdwa v25, v13, v4 dst_sel:DWORD dst_unused:UNUSED_PAD src0_sel:DWORD src1_sel:BYTE_0
	v_lshlrev_b32_sdwa v4, v13, v4 dst_sel:DWORD dst_unused:UNUSED_PAD src0_sel:DWORD src1_sel:BYTE_1
	global_load_dwordx2 v[46:47], v25, s[0:1]
	global_load_dwordx2 v[58:59], v4, s[0:1] offset:2048
	s_waitcnt vmcnt(0)
	v_mul_f32_e32 v4, v47, v59
	v_fma_f32 v67, v46, v58, -v4
	v_mul_lo_u32 v4, v8, v60
	v_mul_f32_e32 v68, v46, v59
	v_lshlrev_b32_sdwa v25, v13, v4 dst_sel:DWORD dst_unused:UNUSED_PAD src0_sel:DWORD src1_sel:BYTE_0
	v_fmac_f32_e32 v68, v47, v58
	v_lshlrev_b32_sdwa v4, v13, v4 dst_sel:DWORD dst_unused:UNUSED_PAD src0_sel:DWORD src1_sel:BYTE_1
	global_load_dwordx2 v[46:47], v25, s[0:1]
	global_load_dwordx2 v[58:59], v4, s[0:1] offset:2048
	s_waitcnt vmcnt(0)
	v_mul_f32_e32 v4, v47, v59
	v_fma_f32 v69, v46, v58, -v4
	v_add_u32_e32 v4, 0x48, v64
	v_mul_lo_u32 v4, v8, v4
	v_mul_f32_e32 v70, v46, v59
	v_lshlrev_b32_sdwa v25, v13, v4 dst_sel:DWORD dst_unused:UNUSED_PAD src0_sel:DWORD src1_sel:BYTE_0
	v_fmac_f32_e32 v70, v47, v58
	v_lshlrev_b32_sdwa v4, v13, v4 dst_sel:DWORD dst_unused:UNUSED_PAD src0_sel:DWORD src1_sel:BYTE_1
	global_load_dwordx2 v[46:47], v25, s[0:1]
	global_load_dwordx2 v[58:59], v4, s[0:1] offset:2048
	s_waitcnt vmcnt(0)
	v_mul_f32_e32 v4, v47, v59
	v_fma_f32 v71, v46, v58, -v4
	v_add_u32_e32 v4, 48, v64
	v_mul_lo_u32 v4, v8, v4
	v_mul_f32_e32 v72, v46, v59
	v_lshlrev_b32_sdwa v25, v13, v4 dst_sel:DWORD dst_unused:UNUSED_PAD src0_sel:DWORD src1_sel:BYTE_0
	v_lshlrev_b32_sdwa v4, v13, v4 dst_sel:DWORD dst_unused:UNUSED_PAD src0_sel:DWORD src1_sel:BYTE_1
	v_fmac_f32_e32 v72, v47, v58
	global_load_dwordx2 v[46:47], v4, s[0:1] offset:2048
	global_load_dwordx2 v[58:59], v25, s[0:1]
	s_waitcnt vmcnt(1)
	v_mov_b32_e32 v4, v47
	s_waitcnt vmcnt(0)
	v_pk_mul_f32 v[62:63], v[58:59], v[46:47] op_sel:[1,0] op_sel_hi:[0,1]
	v_pk_mul_f32 v[60:61], v[58:59], v[4:5] op_sel:[1,0] op_sel_hi:[0,1]
	v_mov_b32_e32 v4, v63
	v_pk_fma_f32 v[60:61], v[58:59], v[46:47], v[60:61] neg_lo:[0,0,1] neg_hi:[0,0,1]
	v_pk_fma_f32 v[46:47], v[58:59], v[46:47], v[4:5] op_sel:[1,0,0] op_sel_hi:[0,1,1]
	v_add_u32_e32 v4, 24, v64
	v_mul_lo_u32 v4, v8, v4
	v_lshlrev_b32_sdwa v25, v13, v4 dst_sel:DWORD dst_unused:UNUSED_PAD src0_sel:DWORD src1_sel:BYTE_0
	v_lshlrev_b32_sdwa v4, v13, v4 dst_sel:DWORD dst_unused:UNUSED_PAD src0_sel:DWORD src1_sel:BYTE_1
	global_load_dwordx2 v[58:59], v25, s[0:1]
	global_load_dwordx2 v[62:63], v4, s[0:1] offset:2048
	v_mov_b32_e32 v25, v27
	v_pk_add_f32 v[24:25], v[54:55], v[24:25] neg_lo:[0,1] neg_hi:[0,1]
	s_waitcnt vmcnt(0)
	v_mul_f32_e32 v4, v59, v63
	v_fma_f32 v73, v58, v62, -v4
	v_mul_lo_u32 v4, v8, v64
	v_mul_f32_e32 v74, v58, v63
	v_lshlrev_b32_sdwa v8, v13, v4 dst_sel:DWORD dst_unused:UNUSED_PAD src0_sel:DWORD src1_sel:BYTE_0
	v_fmac_f32_e32 v74, v59, v62
	v_lshlrev_b32_sdwa v4, v13, v4 dst_sel:DWORD dst_unused:UNUSED_PAD src0_sel:DWORD src1_sel:BYTE_1
	global_load_dwordx2 v[58:59], v8, s[0:1]
	global_load_dwordx2 v[62:63], v4, s[0:1] offset:2048
	ds_read_b64 v[32:33], v40
	v_pk_fma_f32 v[26:27], v[54:55], 2.0, v[24:25] op_sel_hi:[1,0,1] neg_lo:[0,0,1] neg_hi:[0,0,1]
	s_movk_i32 s0, 0x23f
	v_cmp_lt_u32_e32 vcc, s0, v0
	v_mov_b32_e32 v0, 0x60
	s_waitcnt vmcnt(0)
	v_mul_f32_e32 v4, v59, v63
	v_fma_f32 v75, v58, v62, -v4
	ds_read_b64 v[4:5], v9
	s_waitcnt lgkmcnt(1)
	v_pk_add_f32 v[34:35], v[32:33], v[36:37] neg_lo:[0,1] neg_hi:[0,1]
	v_cndmask_b32_e32 v0, 0, v0, vcc
	v_pk_fma_f32 v[32:33], v[32:33], 2.0, v[34:35] op_sel_hi:[1,0,1] neg_lo:[0,0,1] neg_hi:[0,0,1]
	v_mul_f32_e32 v58, v58, v63
	v_pk_add_f32 v[28:29], v[32:33], v[28:29] neg_lo:[0,1] neg_hi:[0,1]
	s_waitcnt lgkmcnt(0)
	v_pk_add_f32 v[8:9], v[4:5], v[52:53] neg_lo:[0,1] neg_hi:[0,1]
	v_pk_mul_f32 v[36:37], v[28:29], v[50:51] op_sel_hi:[1,0]
	v_pk_fma_f32 v[4:5], v[4:5], 2.0, v[8:9] op_sel_hi:[1,0,1] neg_lo:[0,0,1] neg_hi:[0,0,1]
	v_pk_fma_f32 v[38:39], v[28:29], v[48:49], v[36:37] op_sel:[0,0,1] op_sel_hi:[1,1,0]
	v_pk_fma_f32 v[36:37], v[28:29], v[48:49], v[36:37] op_sel:[0,0,1] op_sel_hi:[1,0,0] neg_lo:[0,0,1] neg_hi:[0,0,1]
	v_pk_add_f32 v[26:27], v[4:5], v[26:27] neg_lo:[0,1] neg_hi:[0,1]
	v_fma_f32 v13, v33, 2.0, -v29
	v_fma_f32 v36, v32, 2.0, -v28
	v_pk_mul_f32 v[28:29], v[26:27], v[44:45] op_sel_hi:[1,0]
	v_fmac_f32_e32 v58, v62, v59
	v_pk_fma_f32 v[32:33], v[26:27], v[56:57], v[28:29] op_sel:[0,0,1] op_sel_hi:[1,1,0]
	v_pk_fma_f32 v[28:29], v[26:27], v[56:57], v[28:29] op_sel:[0,0,1] op_sel_hi:[1,0,0] neg_lo:[0,0,1] neg_hi:[0,0,1]
	v_fma_f32 v33, v4, 2.0, -v26
	v_fma_f32 v28, v5, 2.0, -v27
	v_add_f32_e32 v27, v34, v31
	v_sub_f32_e32 v26, v35, v30
	v_mul_f32_e32 v4, v27, v17
	v_fma_f32 v5, v26, v15, -v4
	v_mul_f32_e32 v4, v26, v17
	v_fma_f32 v17, v34, 2.0, -v27
	v_fmac_f32_e32 v4, v27, v15
	v_fma_f32 v15, v35, 2.0, -v26
	v_mul_f32_e32 v26, v17, v20
	v_fma_f32 v27, v15, v18, -v26
	v_mul_f32_e32 v26, v15, v20
	v_mul_f32_e32 v15, v36, v22
	;; [unrolled: 1-line block ×3, first 2 shown]
	v_fma_f32 v31, v13, v10, -v15
	v_fmac_f32_e32 v30, v36, v10
	v_sub_f32_e32 v10, v9, v24
	v_add_f32_e32 v13, v8, v25
	v_mul_f32_e32 v24, v10, v66
	v_mul_f32_e32 v15, v13, v66
	v_fmac_f32_e32 v24, v13, v42
	v_fma_f32 v13, v8, 2.0, -v13
	v_fma_f32 v25, v10, v42, -v15
	v_fma_f32 v10, v9, 2.0, -v10
	v_mul_f32_e32 v8, v13, v68
	v_fma_f32 v9, v10, v67, -v8
	v_mul_f32_e32 v8, v10, v68
	v_fmac_f32_e32 v26, v17, v18
	v_fmac_f32_e32 v8, v13, v67
	v_mov_b32_e32 v17, v23
	v_mov_b32_e32 v13, v21
	;; [unrolled: 1-line block ×3, first 2 shown]
	v_mul_f32_e32 v10, v33, v70
	v_pk_add_f32 v[16:17], v[2:3], v[16:17] neg_lo:[0,1] neg_hi:[0,1]
	v_pk_add_f32 v[14:15], v[12:13], v[14:15] neg_lo:[0,1] neg_hi:[0,1]
	v_fma_f32 v35, v28, v69, -v10
	v_or_b32_e32 v10, v64, v0
	v_pk_fma_f32 v[2:3], v[2:3], 2.0, v[16:17] op_sel_hi:[1,0,1] neg_lo:[0,0,1] neg_hi:[0,0,1]
	v_pk_fma_f32 v[12:13], v[12:13], 2.0, v[14:15] op_sel_hi:[1,0,1] neg_lo:[0,0,1] neg_hi:[0,0,1]
	v_add_u32_e32 v0, s5, v6
	v_add_u32_e32 v6, 24, v10
	v_pk_add_f32 v[12:13], v[2:3], v[12:13] neg_lo:[0,1] neg_hi:[0,1]
	v_mul_f32_e32 v34, v28, v70
	v_mad_u64_u32 v[18:19], s[0:1], s4, v6, v[0:1]
	v_sub_f32_e32 v6, v17, v14
	v_add_f32_e32 v28, v16, v15
	v_pk_mul_f32 v[14:15], v[12:13], v[46:47] op_sel_hi:[1,0]
	v_mul_f32_e32 v42, v6, v72
	v_pk_fma_f32 v[22:23], v[12:13], v[60:61], v[14:15] op_sel:[0,0,1] op_sel_hi:[1,1,0]
	v_pk_fma_f32 v[14:15], v[12:13], v[60:61], v[14:15] op_sel:[0,0,1] op_sel_hi:[1,0,0] neg_lo:[0,0,1] neg_hi:[0,0,1]
	v_fma_f32 v12, v2, 2.0, -v12
	v_mul_f32_e32 v14, v28, v72
	v_fma_f32 v43, v6, v71, -v14
	v_add_u32_e32 v14, 48, v10
	v_mad_u64_u32 v[44:45], s[0:1], s4, v14, v[0:1]
	v_fma_f32 v14, v16, 2.0, -v28
	v_fma_f32 v6, v17, 2.0, -v6
	v_mul_f32_e32 v16, v14, v74
	v_mad_u64_u32 v[20:21], s[0:1], s4, v10, v[0:1]
	v_fma_f32 v17, v6, v73, -v16
	v_mul_f32_e32 v16, v6, v74
	v_fma_f32 v6, v3, 2.0, -v13
	v_mul_f32_e32 v2, v12, v58
	v_mov_b32_e32 v21, v11
	v_fma_f32 v3, v6, v75, -v2
	v_mul_f32_e32 v2, v6, v58
	v_lshl_add_u64 v[20:21], v[20:21], 3, s[8:9]
	v_mov_b32_e32 v19, v11
	v_fmac_f32_e32 v2, v12, v75
	v_lshl_add_u64 v[18:19], v[18:19], 3, s[8:9]
	v_fmac_f32_e32 v16, v14, v73
	global_store_dwordx2 v[20:21], v[2:3], off
	global_store_dwordx2 v[18:19], v[16:17], off
	v_add_u32_e32 v2, 0x48, v10
	v_mad_u64_u32 v[2:3], s[0:1], s4, v2, v[0:1]
	v_mov_b32_e32 v45, v11
	v_mov_b32_e32 v3, v11
	v_fmac_f32_e32 v42, v28, v71
	v_lshl_add_u64 v[44:45], v[44:45], 3, s[8:9]
	v_mov_b32_e32 v23, v15
	v_lshl_add_u64 v[2:3], v[2:3], 3, s[8:9]
	v_mad_u32_u24 v1, v41, s2, v1
	global_store_dwordx2 v[44:45], v[22:23], off
	global_store_dwordx2 v[2:3], v[42:43], off
	v_mad_u64_u32 v[2:3], s[0:1], s4, v1, v[0:1]
	v_mov_b32_e32 v3, v11
	v_fmac_f32_e32 v34, v33, v69
	v_lshl_add_u64 v[2:3], v[2:3], 3, s[8:9]
	global_store_dwordx2 v[2:3], v[34:35], off
	v_add_u32_e32 v2, 24, v1
	v_mad_u64_u32 v[2:3], s[0:1], s4, v2, v[0:1]
	v_mov_b32_e32 v3, v11
	v_lshl_add_u64 v[2:3], v[2:3], 3, s[8:9]
	global_store_dwordx2 v[2:3], v[8:9], off
	v_add_u32_e32 v2, 48, v1
	v_mad_u64_u32 v[2:3], s[0:1], s4, v2, v[0:1]
	v_mov_b32_e32 v3, v11
	v_lshl_add_u64 v[2:3], v[2:3], 3, s[8:9]
	v_mov_b32_e32 v33, v29
	v_add_u32_e32 v1, 0x48, v1
	global_store_dwordx2 v[2:3], v[32:33], off
	v_mad_u64_u32 v[2:3], s[0:1], s4, v1, v[0:1]
	v_mov_b32_e32 v3, v11
	v_lshl_add_u64 v[2:3], v[2:3], 3, s[8:9]
	v_mad_u32_u24 v1, v65, s2, v7
	global_store_dwordx2 v[2:3], v[24:25], off
	v_mad_u64_u32 v[2:3], s[0:1], s4, v1, v[0:1]
	v_mov_b32_e32 v3, v11
	v_lshl_add_u64 v[2:3], v[2:3], 3, s[8:9]
	global_store_dwordx2 v[2:3], v[30:31], off
	v_add_u32_e32 v2, 24, v1
	v_mad_u64_u32 v[2:3], s[0:1], s4, v2, v[0:1]
	v_mov_b32_e32 v3, v11
	v_lshl_add_u64 v[2:3], v[2:3], 3, s[8:9]
	global_store_dwordx2 v[2:3], v[26:27], off
	v_add_u32_e32 v2, 48, v1
	v_mad_u64_u32 v[2:3], s[0:1], s4, v2, v[0:1]
	v_add_u32_e32 v1, 0x48, v1
	v_mad_u64_u32 v[0:1], s[0:1], s4, v1, v[0:1]
	v_mov_b32_e32 v3, v11
	v_mov_b32_e32 v1, v11
	v_lshl_add_u64 v[2:3], v[2:3], 3, s[8:9]
	v_mov_b32_e32 v39, v37
	v_lshl_add_u64 v[0:1], v[0:1], 3, s[8:9]
	global_store_dwordx2 v[2:3], v[38:39], off
	global_store_dwordx2 v[0:1], v[4:5], off
.LBB0_28:
	s_endpgm
	.section	.rodata,"a",@progbits
	.p2align	6, 0x0
	.amdhsa_kernel fft_rtc_back_len96_factors_4_2_3_4_wgs_192_tpt_8_dim2_sp_ip_CI_sbcc_twdbase8_2step_dirReg_intrinsicReadWrite
		.amdhsa_group_segment_fixed_size 0
		.amdhsa_private_segment_fixed_size 0
		.amdhsa_kernarg_size 88
		.amdhsa_user_sgpr_count 2
		.amdhsa_user_sgpr_dispatch_ptr 0
		.amdhsa_user_sgpr_queue_ptr 0
		.amdhsa_user_sgpr_kernarg_segment_ptr 1
		.amdhsa_user_sgpr_dispatch_id 0
		.amdhsa_user_sgpr_kernarg_preload_length 0
		.amdhsa_user_sgpr_kernarg_preload_offset 0
		.amdhsa_user_sgpr_private_segment_size 0
		.amdhsa_uses_dynamic_stack 0
		.amdhsa_enable_private_segment 0
		.amdhsa_system_sgpr_workgroup_id_x 1
		.amdhsa_system_sgpr_workgroup_id_y 0
		.amdhsa_system_sgpr_workgroup_id_z 0
		.amdhsa_system_sgpr_workgroup_info 0
		.amdhsa_system_vgpr_workitem_id 0
		.amdhsa_next_free_vgpr 76
		.amdhsa_next_free_sgpr 21
		.amdhsa_accum_offset 76
		.amdhsa_reserve_vcc 1
		.amdhsa_float_round_mode_32 0
		.amdhsa_float_round_mode_16_64 0
		.amdhsa_float_denorm_mode_32 3
		.amdhsa_float_denorm_mode_16_64 3
		.amdhsa_dx10_clamp 1
		.amdhsa_ieee_mode 1
		.amdhsa_fp16_overflow 0
		.amdhsa_tg_split 0
		.amdhsa_exception_fp_ieee_invalid_op 0
		.amdhsa_exception_fp_denorm_src 0
		.amdhsa_exception_fp_ieee_div_zero 0
		.amdhsa_exception_fp_ieee_overflow 0
		.amdhsa_exception_fp_ieee_underflow 0
		.amdhsa_exception_fp_ieee_inexact 0
		.amdhsa_exception_int_div_zero 0
	.end_amdhsa_kernel
	.text
.Lfunc_end0:
	.size	fft_rtc_back_len96_factors_4_2_3_4_wgs_192_tpt_8_dim2_sp_ip_CI_sbcc_twdbase8_2step_dirReg_intrinsicReadWrite, .Lfunc_end0-fft_rtc_back_len96_factors_4_2_3_4_wgs_192_tpt_8_dim2_sp_ip_CI_sbcc_twdbase8_2step_dirReg_intrinsicReadWrite
                                        ; -- End function
	.section	.AMDGPU.csdata,"",@progbits
; Kernel info:
; codeLenInByte = 5508
; NumSgprs: 27
; NumVgprs: 76
; NumAgprs: 0
; TotalNumVgprs: 76
; ScratchSize: 0
; MemoryBound: 0
; FloatMode: 240
; IeeeMode: 1
; LDSByteSize: 0 bytes/workgroup (compile time only)
; SGPRBlocks: 3
; VGPRBlocks: 9
; NumSGPRsForWavesPerEU: 27
; NumVGPRsForWavesPerEU: 76
; AccumOffset: 76
; Occupancy: 6
; WaveLimiterHint : 1
; COMPUTE_PGM_RSRC2:SCRATCH_EN: 0
; COMPUTE_PGM_RSRC2:USER_SGPR: 2
; COMPUTE_PGM_RSRC2:TRAP_HANDLER: 0
; COMPUTE_PGM_RSRC2:TGID_X_EN: 1
; COMPUTE_PGM_RSRC2:TGID_Y_EN: 0
; COMPUTE_PGM_RSRC2:TGID_Z_EN: 0
; COMPUTE_PGM_RSRC2:TIDIG_COMP_CNT: 0
; COMPUTE_PGM_RSRC3_GFX90A:ACCUM_OFFSET: 18
; COMPUTE_PGM_RSRC3_GFX90A:TG_SPLIT: 0
	.text
	.p2alignl 6, 3212836864
	.fill 256, 4, 3212836864
	.type	__hip_cuid_5fd27d539c1b957f,@object ; @__hip_cuid_5fd27d539c1b957f
	.section	.bss,"aw",@nobits
	.globl	__hip_cuid_5fd27d539c1b957f
__hip_cuid_5fd27d539c1b957f:
	.byte	0                               ; 0x0
	.size	__hip_cuid_5fd27d539c1b957f, 1

	.ident	"AMD clang version 19.0.0git (https://github.com/RadeonOpenCompute/llvm-project roc-6.4.0 25133 c7fe45cf4b819c5991fe208aaa96edf142730f1d)"
	.section	".note.GNU-stack","",@progbits
	.addrsig
	.addrsig_sym __hip_cuid_5fd27d539c1b957f
	.amdgpu_metadata
---
amdhsa.kernels:
  - .agpr_count:     0
    .args:
      - .actual_access:  read_only
        .address_space:  global
        .offset:         0
        .size:           8
        .value_kind:     global_buffer
      - .address_space:  global
        .offset:         8
        .size:           8
        .value_kind:     global_buffer
      - .actual_access:  read_only
        .address_space:  global
        .offset:         16
        .size:           8
        .value_kind:     global_buffer
      - .actual_access:  read_only
        .address_space:  global
        .offset:         24
        .size:           8
        .value_kind:     global_buffer
      - .offset:         32
        .size:           8
        .value_kind:     by_value
      - .actual_access:  read_only
        .address_space:  global
        .offset:         40
        .size:           8
        .value_kind:     global_buffer
      - .actual_access:  read_only
        .address_space:  global
        .offset:         48
        .size:           8
        .value_kind:     global_buffer
      - .offset:         56
        .size:           4
        .value_kind:     by_value
      - .actual_access:  read_only
        .address_space:  global
        .offset:         64
        .size:           8
        .value_kind:     global_buffer
      - .actual_access:  read_only
        .address_space:  global
        .offset:         72
        .size:           8
        .value_kind:     global_buffer
      - .address_space:  global
        .offset:         80
        .size:           8
        .value_kind:     global_buffer
    .group_segment_fixed_size: 0
    .kernarg_segment_align: 8
    .kernarg_segment_size: 88
    .language:       OpenCL C
    .language_version:
      - 2
      - 0
    .max_flat_workgroup_size: 192
    .name:           fft_rtc_back_len96_factors_4_2_3_4_wgs_192_tpt_8_dim2_sp_ip_CI_sbcc_twdbase8_2step_dirReg_intrinsicReadWrite
    .private_segment_fixed_size: 0
    .sgpr_count:     27
    .sgpr_spill_count: 0
    .symbol:         fft_rtc_back_len96_factors_4_2_3_4_wgs_192_tpt_8_dim2_sp_ip_CI_sbcc_twdbase8_2step_dirReg_intrinsicReadWrite.kd
    .uniform_work_group_size: 1
    .uses_dynamic_stack: false
    .vgpr_count:     76
    .vgpr_spill_count: 0
    .wavefront_size: 64
amdhsa.target:   amdgcn-amd-amdhsa--gfx950
amdhsa.version:
  - 1
  - 2
...

	.end_amdgpu_metadata
